;; amdgpu-corpus repo=ROCm/rocFFT kind=compiled arch=gfx906 opt=O3
	.text
	.amdgcn_target "amdgcn-amd-amdhsa--gfx906"
	.amdhsa_code_object_version 6
	.protected	fft_rtc_back_len120_factors_6_10_2_wgs_60_tpt_12_halfLds_sp_op_CI_CI_unitstride_sbrr_C2R_dirReg ; -- Begin function fft_rtc_back_len120_factors_6_10_2_wgs_60_tpt_12_halfLds_sp_op_CI_CI_unitstride_sbrr_C2R_dirReg
	.globl	fft_rtc_back_len120_factors_6_10_2_wgs_60_tpt_12_halfLds_sp_op_CI_CI_unitstride_sbrr_C2R_dirReg
	.p2align	8
	.type	fft_rtc_back_len120_factors_6_10_2_wgs_60_tpt_12_halfLds_sp_op_CI_CI_unitstride_sbrr_C2R_dirReg,@function
fft_rtc_back_len120_factors_6_10_2_wgs_60_tpt_12_halfLds_sp_op_CI_CI_unitstride_sbrr_C2R_dirReg: ; @fft_rtc_back_len120_factors_6_10_2_wgs_60_tpt_12_halfLds_sp_op_CI_CI_unitstride_sbrr_C2R_dirReg
; %bb.0:
	s_load_dwordx4 s[8:11], s[4:5], 0x58
	s_load_dwordx4 s[12:15], s[4:5], 0x0
	;; [unrolled: 1-line block ×3, first 2 shown]
	v_mul_u32_u24_e32 v1, 0x1556, v0
	v_lshrrev_b32_e32 v1, 16, v1
	v_mad_u64_u32 v[3:4], s[0:1], s6, 5, v[1:2]
	v_mov_b32_e32 v5, 0
	v_mov_b32_e32 v1, 0
	;; [unrolled: 1-line block ×3, first 2 shown]
	s_waitcnt lgkmcnt(0)
	v_cmp_lt_u64_e64 s[0:1], s[14:15], 2
	v_mov_b32_e32 v2, 0
	v_mov_b32_e32 v21, v2
	;; [unrolled: 1-line block ×3, first 2 shown]
	s_and_b64 vcc, exec, s[0:1]
	v_mov_b32_e32 v20, v1
	v_mov_b32_e32 v22, v3
	s_cbranch_vccnz .LBB0_8
; %bb.1:
	s_load_dwordx2 s[0:1], s[4:5], 0x10
	s_add_u32 s2, s18, 8
	s_addc_u32 s3, s19, 0
	s_add_u32 s6, s16, 8
	v_mov_b32_e32 v1, 0
	s_addc_u32 s7, s17, 0
	v_mov_b32_e32 v2, 0
	s_waitcnt lgkmcnt(0)
	s_add_u32 s20, s0, 8
	v_mov_b32_e32 v21, v2
	v_mov_b32_e32 v8, v4
	s_addc_u32 s21, s1, 0
	s_mov_b64 s[22:23], 1
	v_mov_b32_e32 v20, v1
	v_mov_b32_e32 v7, v3
.LBB0_2:                                ; =>This Inner Loop Header: Depth=1
	s_load_dwordx2 s[24:25], s[20:21], 0x0
                                        ; implicit-def: $vgpr22_vgpr23
	s_waitcnt lgkmcnt(0)
	v_or_b32_e32 v6, s25, v8
	v_cmp_ne_u64_e32 vcc, 0, v[5:6]
	s_and_saveexec_b64 s[0:1], vcc
	s_xor_b64 s[26:27], exec, s[0:1]
	s_cbranch_execz .LBB0_4
; %bb.3:                                ;   in Loop: Header=BB0_2 Depth=1
	v_cvt_f32_u32_e32 v4, s24
	v_cvt_f32_u32_e32 v6, s25
	s_sub_u32 s0, 0, s24
	s_subb_u32 s1, 0, s25
	v_mac_f32_e32 v4, 0x4f800000, v6
	v_rcp_f32_e32 v4, v4
	v_mul_f32_e32 v4, 0x5f7ffffc, v4
	v_mul_f32_e32 v6, 0x2f800000, v4
	v_trunc_f32_e32 v6, v6
	v_mac_f32_e32 v4, 0xcf800000, v6
	v_cvt_u32_f32_e32 v6, v6
	v_cvt_u32_f32_e32 v4, v4
	v_mul_lo_u32 v9, s0, v6
	v_mul_hi_u32 v10, s0, v4
	v_mul_lo_u32 v12, s1, v4
	v_mul_lo_u32 v11, s0, v4
	v_add_u32_e32 v9, v10, v9
	v_add_u32_e32 v9, v9, v12
	v_mul_hi_u32 v10, v4, v11
	v_mul_lo_u32 v12, v4, v9
	v_mul_hi_u32 v14, v4, v9
	v_mul_hi_u32 v13, v6, v11
	v_mul_lo_u32 v11, v6, v11
	v_mul_hi_u32 v15, v6, v9
	v_add_co_u32_e32 v10, vcc, v10, v12
	v_addc_co_u32_e32 v12, vcc, 0, v14, vcc
	v_mul_lo_u32 v9, v6, v9
	v_add_co_u32_e32 v10, vcc, v10, v11
	v_addc_co_u32_e32 v10, vcc, v12, v13, vcc
	v_addc_co_u32_e32 v11, vcc, 0, v15, vcc
	v_add_co_u32_e32 v9, vcc, v10, v9
	v_addc_co_u32_e32 v10, vcc, 0, v11, vcc
	v_add_co_u32_e32 v4, vcc, v4, v9
	v_addc_co_u32_e32 v6, vcc, v6, v10, vcc
	v_mul_lo_u32 v9, s0, v6
	v_mul_hi_u32 v10, s0, v4
	v_mul_lo_u32 v11, s1, v4
	v_mul_lo_u32 v12, s0, v4
	v_add_u32_e32 v9, v10, v9
	v_add_u32_e32 v9, v9, v11
	v_mul_lo_u32 v13, v4, v9
	v_mul_hi_u32 v14, v4, v12
	v_mul_hi_u32 v15, v4, v9
	;; [unrolled: 1-line block ×3, first 2 shown]
	v_mul_lo_u32 v12, v6, v12
	v_mul_hi_u32 v10, v6, v9
	v_add_co_u32_e32 v13, vcc, v14, v13
	v_addc_co_u32_e32 v14, vcc, 0, v15, vcc
	v_mul_lo_u32 v9, v6, v9
	v_add_co_u32_e32 v12, vcc, v13, v12
	v_addc_co_u32_e32 v11, vcc, v14, v11, vcc
	v_addc_co_u32_e32 v10, vcc, 0, v10, vcc
	v_add_co_u32_e32 v9, vcc, v11, v9
	v_addc_co_u32_e32 v10, vcc, 0, v10, vcc
	v_add_co_u32_e32 v4, vcc, v4, v9
	v_addc_co_u32_e32 v6, vcc, v6, v10, vcc
	v_mad_u64_u32 v[9:10], s[0:1], v7, v6, 0
	v_mul_hi_u32 v11, v7, v4
	v_add_co_u32_e32 v13, vcc, v11, v9
	v_addc_co_u32_e32 v14, vcc, 0, v10, vcc
	v_mad_u64_u32 v[9:10], s[0:1], v8, v4, 0
	v_mad_u64_u32 v[11:12], s[0:1], v8, v6, 0
	v_add_co_u32_e32 v4, vcc, v13, v9
	v_addc_co_u32_e32 v4, vcc, v14, v10, vcc
	v_addc_co_u32_e32 v6, vcc, 0, v12, vcc
	v_add_co_u32_e32 v4, vcc, v4, v11
	v_addc_co_u32_e32 v6, vcc, 0, v6, vcc
	v_mul_lo_u32 v11, s25, v4
	v_mul_lo_u32 v12, s24, v6
	v_mad_u64_u32 v[9:10], s[0:1], s24, v4, 0
	v_add3_u32 v10, v10, v12, v11
	v_sub_u32_e32 v11, v8, v10
	v_mov_b32_e32 v12, s25
	v_sub_co_u32_e32 v9, vcc, v7, v9
	v_subb_co_u32_e64 v11, s[0:1], v11, v12, vcc
	v_subrev_co_u32_e64 v12, s[0:1], s24, v9
	v_subbrev_co_u32_e64 v11, s[0:1], 0, v11, s[0:1]
	v_cmp_le_u32_e64 s[0:1], s25, v11
	v_cndmask_b32_e64 v13, 0, -1, s[0:1]
	v_cmp_le_u32_e64 s[0:1], s24, v12
	v_cndmask_b32_e64 v12, 0, -1, s[0:1]
	v_cmp_eq_u32_e64 s[0:1], s25, v11
	v_cndmask_b32_e64 v11, v13, v12, s[0:1]
	v_add_co_u32_e64 v12, s[0:1], 2, v4
	v_addc_co_u32_e64 v13, s[0:1], 0, v6, s[0:1]
	v_add_co_u32_e64 v14, s[0:1], 1, v4
	v_addc_co_u32_e64 v15, s[0:1], 0, v6, s[0:1]
	v_subb_co_u32_e32 v10, vcc, v8, v10, vcc
	v_cmp_ne_u32_e64 s[0:1], 0, v11
	v_cmp_le_u32_e32 vcc, s25, v10
	v_cndmask_b32_e64 v11, v15, v13, s[0:1]
	v_cndmask_b32_e64 v13, 0, -1, vcc
	v_cmp_le_u32_e32 vcc, s24, v9
	v_cndmask_b32_e64 v9, 0, -1, vcc
	v_cmp_eq_u32_e32 vcc, s25, v10
	v_cndmask_b32_e32 v9, v13, v9, vcc
	v_cmp_ne_u32_e32 vcc, 0, v9
	v_cndmask_b32_e32 v23, v6, v11, vcc
	v_cndmask_b32_e64 v6, v14, v12, s[0:1]
	v_cndmask_b32_e32 v22, v4, v6, vcc
.LBB0_4:                                ;   in Loop: Header=BB0_2 Depth=1
	s_andn2_saveexec_b64 s[0:1], s[26:27]
	s_cbranch_execz .LBB0_6
; %bb.5:                                ;   in Loop: Header=BB0_2 Depth=1
	v_cvt_f32_u32_e32 v4, s24
	s_sub_i32 s26, 0, s24
	v_mov_b32_e32 v23, v5
	v_rcp_iflag_f32_e32 v4, v4
	v_mul_f32_e32 v4, 0x4f7ffffe, v4
	v_cvt_u32_f32_e32 v4, v4
	v_mul_lo_u32 v6, s26, v4
	v_mul_hi_u32 v6, v4, v6
	v_add_u32_e32 v4, v4, v6
	v_mul_hi_u32 v4, v7, v4
	v_mul_lo_u32 v6, v4, s24
	v_add_u32_e32 v9, 1, v4
	v_sub_u32_e32 v6, v7, v6
	v_subrev_u32_e32 v10, s24, v6
	v_cmp_le_u32_e32 vcc, s24, v6
	v_cndmask_b32_e32 v6, v6, v10, vcc
	v_cndmask_b32_e32 v4, v4, v9, vcc
	v_add_u32_e32 v9, 1, v4
	v_cmp_le_u32_e32 vcc, s24, v6
	v_cndmask_b32_e32 v22, v4, v9, vcc
.LBB0_6:                                ;   in Loop: Header=BB0_2 Depth=1
	s_or_b64 exec, exec, s[0:1]
	v_mul_lo_u32 v4, v23, s24
	v_mul_lo_u32 v6, v22, s25
	v_mad_u64_u32 v[9:10], s[0:1], v22, s24, 0
	s_load_dwordx2 s[0:1], s[6:7], 0x0
	s_load_dwordx2 s[24:25], s[2:3], 0x0
	v_add3_u32 v4, v10, v6, v4
	v_sub_co_u32_e32 v6, vcc, v7, v9
	v_subb_co_u32_e32 v4, vcc, v8, v4, vcc
	s_waitcnt lgkmcnt(0)
	v_mul_lo_u32 v7, s0, v4
	v_mul_lo_u32 v8, s1, v6
	v_mad_u64_u32 v[1:2], s[0:1], s0, v6, v[1:2]
	s_add_u32 s22, s22, 1
	s_addc_u32 s23, s23, 0
	s_add_u32 s2, s2, 8
	v_mul_lo_u32 v4, s24, v4
	v_mul_lo_u32 v9, s25, v6
	v_mad_u64_u32 v[20:21], s[0:1], s24, v6, v[20:21]
	v_add3_u32 v2, v8, v2, v7
	s_addc_u32 s3, s3, 0
	v_mov_b32_e32 v6, s14
	s_add_u32 s6, s6, 8
	v_mov_b32_e32 v7, s15
	s_addc_u32 s7, s7, 0
	v_cmp_ge_u64_e32 vcc, s[22:23], v[6:7]
	s_add_u32 s20, s20, 8
	v_add3_u32 v21, v9, v21, v4
	s_addc_u32 s21, s21, 0
	s_cbranch_vccnz .LBB0_8
; %bb.7:                                ;   in Loop: Header=BB0_2 Depth=1
	v_mov_b32_e32 v7, v22
	v_mov_b32_e32 v8, v23
	s_branch .LBB0_2
.LBB0_8:
	s_mov_b32 s2, 0xcccccccd
	s_load_dwordx2 s[0:1], s[4:5], 0x28
	v_mul_hi_u32 v4, v3, s2
	s_lshl_b64 s[6:7], s[14:15], 3
	s_add_u32 s2, s18, s6
	s_addc_u32 s3, s19, s7
	v_lshrrev_b32_e32 v4, 2, v4
	v_lshl_add_u32 v4, v4, 2, v4
	s_waitcnt lgkmcnt(0)
	v_cmp_gt_u64_e32 vcc, s[0:1], v[22:23]
	v_cmp_le_u64_e64 s[0:1], s[0:1], v[22:23]
	v_sub_u32_e32 v5, v3, v4
                                        ; implicit-def: $vgpr24
                                        ; implicit-def: $vgpr3_vgpr4
	s_and_saveexec_b64 s[4:5], s[0:1]
	s_xor_b64 s[0:1], exec, s[4:5]
; %bb.9:
	s_mov_b32 s4, 0x15555556
	v_mul_hi_u32 v1, v0, s4
	v_mov_b32_e32 v25, 0
	v_mul_u32_u24_e32 v1, 12, v1
	v_sub_u32_e32 v24, v0, v1
	v_mov_b32_e32 v3, v24
	v_mov_b32_e32 v4, v25
                                        ; implicit-def: $vgpr0
                                        ; implicit-def: $vgpr1_vgpr2
; %bb.10:
	s_or_saveexec_b64 s[4:5], s[0:1]
	s_load_dwordx2 s[2:3], s[2:3], 0x0
	v_mul_u32_u24_e32 v36, 0x79, v5
	v_lshlrev_b32_e32 v33, 3, v36
	s_xor_b64 exec, exec, s[4:5]
	s_cbranch_execz .LBB0_14
; %bb.11:
	s_add_u32 s0, s16, s6
	s_addc_u32 s1, s17, s7
	s_load_dwordx2 s[0:1], s[0:1], 0x0
	s_mov_b32 s6, 0x15555556
	v_mul_hi_u32 v5, v0, s6
	v_mov_b32_e32 v25, 0
	s_waitcnt lgkmcnt(0)
	v_mul_lo_u32 v6, s1, v22
	v_mul_lo_u32 v7, s0, v23
	v_mad_u64_u32 v[3:4], s[0:1], s0, v22, 0
	v_mul_u32_u24_e32 v5, 12, v5
	v_sub_u32_e32 v24, v0, v5
	v_add3_u32 v4, v4, v7, v6
	v_lshlrev_b64 v[3:4], 3, v[3:4]
	v_mov_b32_e32 v0, s9
	v_add_co_u32_e64 v3, s[0:1], s8, v3
	v_addc_co_u32_e64 v4, s[0:1], v0, v4, s[0:1]
	v_lshlrev_b64 v[0:1], 3, v[1:2]
	v_lshlrev_b32_e32 v30, 3, v24
	v_add_co_u32_e64 v0, s[0:1], v3, v0
	v_addc_co_u32_e64 v1, s[0:1], v4, v1, s[0:1]
	v_add_co_u32_e64 v2, s[0:1], v0, v30
	v_addc_co_u32_e64 v3, s[0:1], 0, v1, s[0:1]
	global_load_dwordx2 v[4:5], v[2:3], off
	global_load_dwordx2 v[6:7], v[2:3], off offset:96
	global_load_dwordx2 v[8:9], v[2:3], off offset:192
	;; [unrolled: 1-line block ×9, first 2 shown]
	v_add3_u32 v2, 0, v33, v30
	v_cmp_eq_u32_e64 s[0:1], 11, v24
	s_waitcnt vmcnt(8)
	ds_write2_b64 v2, v[4:5], v[6:7] offset1:12
	s_waitcnt vmcnt(6)
	ds_write2_b64 v2, v[8:9], v[10:11] offset0:24 offset1:36
	s_waitcnt vmcnt(4)
	ds_write2_b64 v2, v[12:13], v[14:15] offset0:48 offset1:60
	;; [unrolled: 2-line block ×4, first 2 shown]
	v_mov_b32_e32 v3, v24
	v_mov_b32_e32 v4, v25
	s_and_saveexec_b64 s[6:7], s[0:1]
	s_cbranch_execz .LBB0_13
; %bb.12:
	global_load_dwordx2 v[0:1], v[0:1], off offset:960
	v_mov_b32_e32 v3, 11
	v_mov_b32_e32 v4, 0
	;; [unrolled: 1-line block ×3, first 2 shown]
	s_waitcnt vmcnt(0)
	ds_write_b64 v2, v[0:1] offset:872
.LBB0_13:
	s_or_b64 exec, exec, s[6:7]
.LBB0_14:
	s_or_b64 exec, exec, s[4:5]
	v_lshl_add_u32 v32, v36, 3, 0
	v_lshlrev_b32_e32 v0, 3, v24
	v_add_u32_e32 v34, v32, v0
	s_waitcnt lgkmcnt(0)
	; wave barrier
	s_waitcnt lgkmcnt(0)
	v_sub_u32_e32 v2, v32, v0
	ds_read_b32 v5, v34
	ds_read_b32 v6, v2 offset:960
	v_lshlrev_b64 v[26:27], 3, v[3:4]
	v_cmp_ne_u32_e64 s[0:1], 0, v24
	s_waitcnt lgkmcnt(0)
	v_add_f32_e32 v0, v6, v5
	v_sub_f32_e32 v1, v5, v6
	s_and_saveexec_b64 s[4:5], s[0:1]
	s_xor_b64 s[4:5], exec, s[4:5]
	s_cbranch_execz .LBB0_16
; %bb.15:
	v_mov_b32_e32 v1, s13
	v_add_co_u32_e64 v0, s[0:1], s12, v26
	v_addc_co_u32_e64 v1, s[0:1], v1, v27, s[0:1]
	global_load_dwordx2 v[3:4], v[0:1], off offset:912
	ds_read_b32 v0, v2 offset:964
	ds_read_b32 v1, v34 offset:4
	v_add_f32_e32 v7, v6, v5
	v_sub_f32_e32 v8, v5, v6
	s_waitcnt lgkmcnt(0)
	v_add_f32_e32 v9, v0, v1
	v_sub_f32_e32 v0, v1, v0
	s_waitcnt vmcnt(0)
	v_fma_f32 v5, -v8, v4, v7
	v_fma_f32 v6, v9, v4, -v0
	v_fma_f32 v10, v8, v4, v7
	v_fma_f32 v1, v9, v4, v0
	v_fmac_f32_e32 v5, v3, v9
	v_fmac_f32_e32 v6, v8, v3
	v_fma_f32 v0, -v3, v9, v10
	v_fmac_f32_e32 v1, v8, v3
	ds_write_b64 v2, v[5:6] offset:960
.LBB0_16:
	s_andn2_saveexec_b64 s[0:1], s[4:5]
	s_cbranch_execz .LBB0_18
; %bb.17:
	ds_read_b64 v[3:4], v32 offset:480
	s_waitcnt lgkmcnt(0)
	v_add_f32_e32 v3, v3, v3
	v_mul_f32_e32 v4, -2.0, v4
	ds_write_b64 v32, v[3:4] offset:480
.LBB0_18:
	s_or_b64 exec, exec, s[0:1]
	v_mov_b32_e32 v25, 0
	s_add_u32 s0, s12, 0x390
	v_lshlrev_b64 v[28:29], 3, v[24:25]
	s_addc_u32 s1, s13, 0
	v_mov_b32_e32 v4, s1
	v_add_co_u32_e64 v3, s[0:1], s0, v28
	v_addc_co_u32_e64 v4, s[0:1], v4, v29, s[0:1]
	global_load_dwordx2 v[5:6], v[3:4], off offset:96
	global_load_dwordx2 v[7:8], v[3:4], off offset:192
	;; [unrolled: 1-line block ×4, first 2 shown]
	ds_write_b64 v34, v[0:1]
	ds_read_b64 v[0:1], v34 offset:96
	ds_read_b64 v[3:4], v2 offset:864
	v_lshl_add_u32 v39, v24, 3, 0
	v_add_u32_e32 v35, v39, v33
	v_cmp_gt_u32_e64 s[0:1], 8, v24
	s_waitcnt lgkmcnt(0)
	v_add_f32_e32 v13, v0, v3
	v_add_f32_e32 v14, v4, v1
	v_sub_f32_e32 v15, v0, v3
	v_sub_f32_e32 v3, v1, v4
	s_waitcnt vmcnt(3)
	v_fma_f32 v16, v15, v6, v13
	v_fma_f32 v4, v14, v6, v3
	v_fma_f32 v0, -v15, v6, v13
	v_fma_f32 v1, v14, v6, -v3
	v_fma_f32 v3, -v5, v14, v16
	v_fmac_f32_e32 v4, v15, v5
	v_fmac_f32_e32 v0, v5, v14
	v_fmac_f32_e32 v1, v15, v5
	ds_write_b64 v34, v[3:4] offset:96
	ds_write_b64 v2, v[0:1] offset:864
	ds_read_b64 v[0:1], v34 offset:192
	ds_read_b64 v[3:4], v2 offset:768
	s_waitcnt lgkmcnt(0)
	v_add_f32_e32 v5, v0, v3
	v_add_f32_e32 v6, v4, v1
	v_sub_f32_e32 v13, v0, v3
	v_sub_f32_e32 v3, v1, v4
	s_waitcnt vmcnt(2)
	v_fma_f32 v14, v13, v8, v5
	v_fma_f32 v4, v6, v8, v3
	v_fma_f32 v0, -v13, v8, v5
	v_fma_f32 v1, v6, v8, -v3
	v_fma_f32 v3, -v7, v6, v14
	v_fmac_f32_e32 v4, v13, v7
	v_fmac_f32_e32 v0, v7, v6
	v_fmac_f32_e32 v1, v13, v7
	ds_write_b64 v34, v[3:4] offset:192
	ds_write_b64 v2, v[0:1] offset:768
	ds_read_b64 v[0:1], v34 offset:288
	ds_read_b64 v[3:4], v2 offset:672
	;; [unrolled: 18-line block ×3, first 2 shown]
	s_waitcnt lgkmcnt(0)
	v_add_f32_e32 v5, v0, v3
	v_add_f32_e32 v6, v4, v1
	v_sub_f32_e32 v7, v0, v3
	v_sub_f32_e32 v0, v1, v4
	s_waitcnt vmcnt(0)
	v_fma_f32 v8, v7, v12, v5
	v_fma_f32 v1, v6, v12, v0
	v_fma_f32 v3, -v7, v12, v5
	v_fma_f32 v4, v6, v12, -v0
	v_fma_f32 v0, -v11, v6, v8
	v_fmac_f32_e32 v1, v7, v11
	v_fmac_f32_e32 v3, v11, v6
	;; [unrolled: 1-line block ×3, first 2 shown]
	ds_write_b64 v34, v[0:1] offset:384
	ds_write_b64 v2, v[3:4] offset:576
	s_waitcnt lgkmcnt(0)
	; wave barrier
	s_waitcnt lgkmcnt(0)
	s_waitcnt lgkmcnt(0)
	; wave barrier
	s_waitcnt lgkmcnt(0)
	ds_read2_b64 v[0:3], v35 offset0:32 offset1:40
	ds_read2_b64 v[4:7], v35 offset0:72 offset1:80
	ds_read_b64 v[37:38], v34
	ds_read2_b64 v[8:11], v35 offset0:52 offset1:60
	ds_read2_b64 v[12:15], v35 offset0:92 offset1:100
	;; [unrolled: 1-line block ×3, first 2 shown]
	ds_read_b64 v[30:31], v35 offset:896
	s_waitcnt lgkmcnt(5)
	v_add_f32_e32 v41, v3, v7
	v_add_f32_e32 v47, v2, v6
	s_waitcnt lgkmcnt(2)
	v_add_f32_e32 v43, v11, v15
	v_add_f32_e32 v42, v10, v14
	v_sub_f32_e32 v44, v11, v15
	v_sub_f32_e32 v45, v10, v14
	s_waitcnt lgkmcnt(1)
	v_add_f32_e32 v10, v18, v10
	v_add_f32_e32 v11, v19, v11
	v_fma_f32 v19, -0.5, v43, v19
	v_fma_f32 v18, -0.5, v42, v18
	v_add_f32_e32 v14, v10, v14
	v_mov_b32_e32 v10, v19
	v_add_f32_e32 v40, v38, v3
	v_add_f32_e32 v46, v37, v2
	v_sub_f32_e32 v48, v2, v6
	v_fmac_f32_e32 v38, -0.5, v41
	v_fma_f32 v37, -0.5, v47, v37
	v_mov_b32_e32 v2, v18
	v_fmac_f32_e32 v10, 0x3f5db3d7, v45
	v_sub_f32_e32 v3, v3, v7
	v_add_f32_e32 v41, v46, v6
	v_mov_b32_e32 v42, v37
	v_mov_b32_e32 v43, v38
	v_fmac_f32_e32 v2, 0xbf5db3d7, v44
	v_mul_f32_e32 v46, 0xbf5db3d7, v10
	v_mul_f32_e32 v47, 0.5, v10
	v_add_f32_e32 v40, v40, v7
	v_add_f32_e32 v15, v11, v15
	v_fmac_f32_e32 v42, 0xbf5db3d7, v3
	v_fmac_f32_e32 v46, 0.5, v2
	v_fmac_f32_e32 v47, 0x3f5db3d7, v2
	v_fmac_f32_e32 v43, 0x3f5db3d7, v48
	v_mad_u32_u24 v2, v24, 40, v39
	v_add_f32_e32 v6, v41, v14
	v_add_f32_e32 v7, v40, v15
	;; [unrolled: 1-line block ×4, first 2 shown]
	v_add_u32_e32 v39, v2, v33
	v_fmac_f32_e32 v19, 0xbf5db3d7, v45
	s_waitcnt lgkmcnt(0)
	; wave barrier
	s_waitcnt lgkmcnt(0)
	ds_write2_b64 v39, v[6:7], v[10:11] offset1:1
	v_sub_f32_e32 v6, v41, v14
	v_fmac_f32_e32 v37, 0x3f5db3d7, v3
	v_fmac_f32_e32 v18, 0x3f5db3d7, v44
	v_mul_f32_e32 v3, 0xbf5db3d7, v19
	v_mul_f32_e32 v14, -0.5, v19
	v_fmac_f32_e32 v38, 0xbf5db3d7, v48
	v_fmac_f32_e32 v3, -0.5, v18
	v_fmac_f32_e32 v14, 0x3f5db3d7, v18
	v_sub_f32_e32 v7, v40, v15
	v_add_f32_e32 v10, v37, v3
	v_add_f32_e32 v11, v38, v14
	ds_write2_b64 v39, v[10:11], v[6:7] offset0:2 offset1:3
	v_sub_f32_e32 v7, v38, v14
	v_sub_f32_e32 v6, v37, v3
	v_sub_f32_e32 v10, v42, v46
	v_sub_f32_e32 v11, v43, v47
	ds_write2_b64 v39, v[10:11], v[6:7] offset0:4 offset1:5
	s_and_saveexec_b64 s[4:5], s[0:1]
	s_cbranch_execz .LBB0_20
; %bb.19:
	v_add_f32_e32 v6, v4, v30
	v_fma_f32 v14, -0.5, v6, v0
	v_add_f32_e32 v6, v5, v31
	v_fma_f32 v18, -0.5, v6, v1
	v_add_f32_e32 v3, v9, v13
	v_sub_f32_e32 v19, v4, v30
	v_mov_b32_e32 v37, v18
	v_fma_f32 v3, -0.5, v3, v17
	v_sub_f32_e32 v10, v5, v31
	v_mov_b32_e32 v15, v14
	v_fmac_f32_e32 v37, 0xbf5db3d7, v19
	v_add_f32_e32 v1, v1, v5
	v_add_f32_e32 v5, v8, v12
	v_sub_f32_e32 v7, v8, v12
	v_mov_b32_e32 v11, v3
	v_fmac_f32_e32 v15, 0x3f5db3d7, v10
	v_mul_f32_e32 v38, -0.5, v37
	v_fmac_f32_e32 v18, 0x3f5db3d7, v19
	v_add_f32_e32 v17, v17, v9
	v_add_f32_e32 v19, v1, v31
	v_fma_f32 v31, -0.5, v5, v16
	v_mul_f32_e32 v37, 0xbf5db3d7, v37
	v_fmac_f32_e32 v11, 0xbf5db3d7, v7
	v_fmac_f32_e32 v38, 0x3f5db3d7, v15
	;; [unrolled: 1-line block ×4, first 2 shown]
	v_mul_f32_e32 v7, 0.5, v18
	v_add_f32_e32 v17, v17, v13
	v_sub_f32_e32 v9, v9, v13
	v_mov_b32_e32 v13, v31
	v_fmac_f32_e32 v37, -0.5, v15
	v_mul_f32_e32 v15, 0xbf5db3d7, v18
	v_add_f32_e32 v8, v16, v8
	v_add_f32_e32 v0, v0, v4
	v_fmac_f32_e32 v7, 0x3f5db3d7, v14
	v_fmac_f32_e32 v13, 0x3f5db3d7, v9
	;; [unrolled: 1-line block ×3, first 2 shown]
	v_fmac_f32_e32 v15, 0.5, v14
	v_add_f32_e32 v14, v8, v12
	v_add_f32_e32 v16, v0, v30
	v_sub_f32_e32 v6, v11, v38
	v_sub_f32_e32 v10, v3, v7
	;; [unrolled: 1-line block ×3, first 2 shown]
	v_add_f32_e32 v4, v11, v38
	v_add_f32_e32 v8, v3, v7
	;; [unrolled: 1-line block ×6, first 2 shown]
	v_lshl_add_u32 v13, v36, 3, v2
	v_sub_f32_e32 v1, v17, v19
	v_sub_f32_e32 v9, v31, v15
	;; [unrolled: 1-line block ×3, first 2 shown]
	ds_write2_b64 v13, v[11:12], v[7:8] offset0:72 offset1:73
	ds_write2_b64 v13, v[3:4], v[0:1] offset0:74 offset1:75
	ds_write2_b64 v13, v[9:10], v[5:6] offset0:76 offset1:77
.LBB0_20:
	s_or_b64 exec, exec, s[4:5]
	v_add_u32_e32 v0, -6, v24
	v_cmp_gt_u32_e64 s[0:1], 6, v24
	v_cndmask_b32_e64 v54, v0, v24, s[0:1]
	v_mul_i32_i24_e32 v0, 9, v54
	v_mov_b32_e32 v1, v25
	v_lshlrev_b64 v[0:1], 3, v[0:1]
	v_mov_b32_e32 v25, s13
	v_add_co_u32_e64 v0, s[0:1], s12, v0
	v_addc_co_u32_e64 v1, s[0:1], v25, v1, s[0:1]
	s_waitcnt lgkmcnt(0)
	; wave barrier
	s_waitcnt lgkmcnt(0)
	global_load_dwordx4 v[3:6], v[0:1], off
	global_load_dwordx4 v[7:10], v[0:1], off offset:16
	global_load_dwordx4 v[11:14], v[0:1], off offset:32
	;; [unrolled: 1-line block ×3, first 2 shown]
	global_load_dwordx2 v[30:31], v[0:1], off offset:64
	v_mul_i32_i24_e32 v0, 0xffffffd8, v24
	ds_read2_b64 v[36:39], v35 offset0:60 offset1:72
	v_add3_u32 v55, v2, v0, v33
	ds_read2_b64 v[40:43], v55 offset0:12 offset1:24
	ds_read2_b64 v[44:47], v55 offset0:36 offset1:48
	;; [unrolled: 1-line block ×3, first 2 shown]
	ds_read_b64 v[0:1], v34
	ds_read_b64 v[52:53], v55 offset:864
	v_cmp_lt_u32_e64 s[0:1], 5, v24
	s_waitcnt lgkmcnt(0)
	; wave barrier
	s_waitcnt vmcnt(4) lgkmcnt(0)
	v_mul_f32_e32 v19, v4, v41
	v_mul_f32_e32 v2, v4, v40
	v_mul_f32_e32 v4, v6, v43
	v_mul_f32_e32 v6, v6, v42
	s_waitcnt vmcnt(3)
	v_mul_f32_e32 v57, v10, v47
	v_fmac_f32_e32 v19, v3, v40
	v_fma_f32 v40, v3, v41, -v2
	s_waitcnt vmcnt(2)
	v_mul_f32_e32 v3, v39, v14
	v_mul_f32_e32 v56, v8, v45
	;; [unrolled: 1-line block ×4, first 2 shown]
	v_fmac_f32_e32 v4, v5, v42
	v_fma_f32 v2, v5, v43, -v6
	v_mul_f32_e32 v5, v38, v14
	s_waitcnt vmcnt(1)
	v_mul_f32_e32 v6, v49, v16
	v_mul_f32_e32 v14, v48, v16
	;; [unrolled: 1-line block ×3, first 2 shown]
	v_fmac_f32_e32 v57, v9, v46
	v_fmac_f32_e32 v3, v38, v13
	v_mul_f32_e32 v58, v12, v37
	v_mul_f32_e32 v12, v12, v36
	;; [unrolled: 1-line block ×3, first 2 shown]
	s_waitcnt vmcnt(0)
	v_mul_f32_e32 v41, v53, v31
	v_mul_f32_e32 v31, v52, v31
	v_fmac_f32_e32 v56, v7, v44
	v_fma_f32 v7, v7, v45, -v8
	v_fma_f32 v8, v9, v47, -v10
	;; [unrolled: 1-line block ×3, first 2 shown]
	v_fmac_f32_e32 v16, v50, v17
	v_add_f32_e32 v14, v57, v3
	v_fmac_f32_e32 v58, v11, v36
	v_fma_f32 v9, v11, v37, -v12
	v_fma_f32 v5, v39, v13, -v5
	;; [unrolled: 1-line block ×4, first 2 shown]
	v_add_f32_e32 v31, v4, v16
	v_fma_f32 v39, -0.5, v14, v0
	v_fmac_f32_e32 v6, v48, v15
	v_add_f32_e32 v13, v0, v4
	v_sub_f32_e32 v15, v2, v11
	v_fma_f32 v0, -0.5, v31, v0
	v_mov_b32_e32 v31, v39
	v_fmac_f32_e32 v41, v52, v30
	v_sub_f32_e32 v17, v8, v5
	v_sub_f32_e32 v18, v4, v57
	;; [unrolled: 1-line block ×5, first 2 shown]
	v_add_f32_e32 v38, v1, v2
	v_fmac_f32_e32 v39, 0x3f737871, v15
	v_fmac_f32_e32 v31, 0xbf737871, v15
	v_add_f32_e32 v14, v18, v30
	v_add_f32_e32 v18, v36, v37
	;; [unrolled: 1-line block ×3, first 2 shown]
	v_mov_b32_e32 v36, v0
	v_fmac_f32_e32 v39, 0x3f167918, v17
	v_fmac_f32_e32 v31, 0xbf167918, v17
	;; [unrolled: 1-line block ×6, first 2 shown]
	v_add_f32_e32 v14, v30, v5
	v_fmac_f32_e32 v0, 0x3f167918, v15
	v_fmac_f32_e32 v36, 0xbf167918, v15
	v_add_f32_e32 v15, v14, v11
	v_add_f32_e32 v14, v8, v5
	;; [unrolled: 1-line block ×3, first 2 shown]
	v_fma_f32 v30, -0.5, v14, v1
	v_add_f32_e32 v13, v13, v3
	v_sub_f32_e32 v4, v4, v16
	v_mov_b32_e32 v17, v30
	v_add_f32_e32 v13, v13, v16
	v_fmac_f32_e32 v17, 0x3f737871, v4
	v_sub_f32_e32 v3, v57, v3
	v_sub_f32_e32 v14, v2, v8
	;; [unrolled: 1-line block ×3, first 2 shown]
	v_fmac_f32_e32 v30, 0xbf737871, v4
	v_fmac_f32_e32 v17, 0x3f167918, v3
	v_add_f32_e32 v14, v14, v16
	v_fmac_f32_e32 v30, 0xbf167918, v3
	v_fmac_f32_e32 v17, 0x3e9e377a, v14
	;; [unrolled: 1-line block ×3, first 2 shown]
	v_add_f32_e32 v14, v2, v11
	v_fmac_f32_e32 v1, -0.5, v14
	v_mov_b32_e32 v37, v1
	v_fmac_f32_e32 v37, 0xbf737871, v3
	v_sub_f32_e32 v2, v8, v2
	v_sub_f32_e32 v5, v5, v11
	v_fmac_f32_e32 v1, 0x3f737871, v3
	v_fmac_f32_e32 v37, 0x3f167918, v4
	v_add_f32_e32 v2, v2, v5
	v_fmac_f32_e32 v1, 0xbf167918, v4
	v_fmac_f32_e32 v37, 0x3e9e377a, v2
	;; [unrolled: 1-line block ×3, first 2 shown]
	v_add_f32_e32 v2, v19, v56
	v_add_f32_e32 v2, v2, v58
	;; [unrolled: 1-line block ×5, first 2 shown]
	v_fma_f32 v11, -0.5, v2, v19
	v_sub_f32_e32 v2, v7, v12
	v_mov_b32_e32 v5, v11
	v_fmac_f32_e32 v5, 0xbf737871, v2
	v_sub_f32_e32 v3, v9, v10
	v_sub_f32_e32 v4, v56, v58
	;; [unrolled: 1-line block ×3, first 2 shown]
	v_fmac_f32_e32 v11, 0x3f737871, v2
	v_fmac_f32_e32 v5, 0xbf167918, v3
	v_add_f32_e32 v4, v4, v8
	v_fmac_f32_e32 v11, 0x3f167918, v3
	v_fmac_f32_e32 v5, 0x3e9e377a, v4
	;; [unrolled: 1-line block ×3, first 2 shown]
	v_add_f32_e32 v4, v56, v41
	v_fmac_f32_e32 v19, -0.5, v4
	v_mov_b32_e32 v16, v19
	v_fmac_f32_e32 v16, 0x3f737871, v3
	v_fmac_f32_e32 v19, 0xbf737871, v3
	;; [unrolled: 1-line block ×4, first 2 shown]
	v_add_f32_e32 v2, v40, v7
	v_add_f32_e32 v2, v2, v9
	;; [unrolled: 1-line block ×5, first 2 shown]
	v_fmac_f32_e32 v0, 0x3e9e377a, v18
	v_fmac_f32_e32 v36, 0x3e9e377a, v18
	v_sub_f32_e32 v4, v58, v56
	v_sub_f32_e32 v8, v6, v41
	v_fma_f32 v18, -0.5, v2, v40
	v_add_f32_e32 v4, v4, v8
	v_sub_f32_e32 v2, v56, v41
	v_mov_b32_e32 v41, v18
	v_fmac_f32_e32 v16, 0x3e9e377a, v4
	v_fmac_f32_e32 v19, 0x3e9e377a, v4
	;; [unrolled: 1-line block ×3, first 2 shown]
	v_sub_f32_e32 v3, v58, v6
	v_sub_f32_e32 v4, v7, v9
	;; [unrolled: 1-line block ×3, first 2 shown]
	v_fmac_f32_e32 v18, 0xbf737871, v2
	v_fmac_f32_e32 v41, 0x3f167918, v3
	v_add_f32_e32 v4, v4, v6
	v_fmac_f32_e32 v18, 0xbf167918, v3
	v_fmac_f32_e32 v41, 0x3e9e377a, v4
	;; [unrolled: 1-line block ×3, first 2 shown]
	v_add_f32_e32 v4, v7, v12
	v_fmac_f32_e32 v40, -0.5, v4
	v_mov_b32_e32 v42, v40
	v_sub_f32_e32 v4, v9, v7
	v_sub_f32_e32 v6, v10, v12
	v_fmac_f32_e32 v40, 0x3f737871, v3
	v_add_f32_e32 v4, v4, v6
	v_fmac_f32_e32 v40, 0xbf167918, v2
	v_fmac_f32_e32 v40, 0x3e9e377a, v4
	v_mul_f32_e32 v45, 0xbf737871, v40
	v_mul_f32_e32 v40, 0xbe9e377a, v40
	v_fmac_f32_e32 v45, 0xbe9e377a, v19
	v_fmac_f32_e32 v40, 0x3f737871, v19
	v_mul_f32_e32 v19, 0xbf4f1bbd, v18
	v_fmac_f32_e32 v42, 0xbf737871, v3
	v_mul_f32_e32 v46, 0xbf167918, v18
	v_fmac_f32_e32 v19, 0x3f167918, v11
	v_fmac_f32_e32 v42, 0x3f167918, v2
	v_mul_f32_e32 v43, 0xbf167918, v41
	v_fmac_f32_e32 v46, 0xbf4f1bbd, v11
	v_add_f32_e32 v11, v30, v19
	v_sub_f32_e32 v19, v30, v19
	v_mov_b32_e32 v30, 0x1e0
	v_fmac_f32_e32 v42, 0x3e9e377a, v4
	v_fmac_f32_e32 v43, 0x3f4f1bbd, v5
	v_mul_f32_e32 v41, 0x3f4f1bbd, v41
	v_cndmask_b32_e64 v30, 0, v30, s[0:1]
	v_add_f32_e32 v2, v13, v14
	v_add_f32_e32 v4, v31, v43
	v_mul_f32_e32 v44, 0xbf737871, v42
	v_fmac_f32_e32 v41, 0x3f167918, v5
	v_mul_f32_e32 v42, 0x3e9e377a, v42
	v_sub_f32_e32 v12, v13, v14
	v_sub_f32_e32 v14, v31, v43
	v_add_u32_e32 v30, 0, v30
	v_lshlrev_b32_e32 v31, 3, v54
	v_fmac_f32_e32 v44, 0x3e9e377a, v16
	v_add_f32_e32 v8, v0, v45
	v_add_f32_e32 v3, v15, v38
	v_add_f32_e32 v5, v17, v41
	v_fmac_f32_e32 v42, 0x3f737871, v16
	v_sub_f32_e32 v0, v0, v45
	v_add3_u32 v30, v30, v31, v33
	v_add_f32_e32 v6, v36, v44
	v_add_f32_e32 v10, v39, v46
	;; [unrolled: 1-line block ×4, first 2 shown]
	v_sub_f32_e32 v16, v36, v44
	v_sub_f32_e32 v18, v39, v46
	;; [unrolled: 1-line block ×6, first 2 shown]
	ds_write2_b64 v30, v[2:3], v[4:5] offset1:6
	ds_write2_b64 v30, v[6:7], v[8:9] offset0:12 offset1:18
	ds_write2_b64 v30, v[10:11], v[12:13] offset0:24 offset1:30
	;; [unrolled: 1-line block ×4, first 2 shown]
	v_add_co_u32_e64 v0, s[0:1], s12, v26
	v_addc_co_u32_e64 v1, s[0:1], v25, v27, s[0:1]
	s_waitcnt lgkmcnt(0)
	; wave barrier
	s_waitcnt lgkmcnt(0)
	global_load_dwordx2 v[16:17], v[0:1], off offset:432
	v_add_co_u32_e64 v0, s[0:1], s12, v28
	v_addc_co_u32_e64 v1, s[0:1], v25, v29, s[0:1]
	global_load_dwordx2 v[18:19], v[0:1], off offset:528
	global_load_dwordx2 v[25:26], v[0:1], off offset:624
	;; [unrolled: 1-line block ×4, first 2 shown]
	ds_read2_b64 v[0:3], v35 offset0:60 offset1:72
	ds_read2_b64 v[4:7], v55 offset0:12 offset1:24
	;; [unrolled: 1-line block ×4, first 2 shown]
	ds_read_b64 v[33:34], v34
	ds_read_b64 v[36:37], v55 offset:864
	s_waitcnt lgkmcnt(0)
	; wave barrier
	s_waitcnt vmcnt(4) lgkmcnt(0)
	v_mul_f32_e32 v31, v17, v1
	v_fmac_f32_e32 v31, v16, v0
	v_mul_f32_e32 v0, v17, v0
	v_fma_f32 v1, v16, v1, -v0
	s_waitcnt vmcnt(3)
	v_mul_f32_e32 v16, v19, v3
	v_mul_f32_e32 v0, v19, v2
	v_fmac_f32_e32 v16, v18, v2
	v_fma_f32 v17, v18, v3, -v0
	s_waitcnt vmcnt(2)
	v_mul_f32_e32 v18, v26, v9
	v_mul_f32_e32 v0, v26, v8
	v_fmac_f32_e32 v18, v25, v8
	;; [unrolled: 5-line block ×4, first 2 shown]
	v_fma_f32 v19, v29, v37, -v0
	v_sub_f32_e32 v0, v33, v31
	v_sub_f32_e32 v1, v34, v1
	;; [unrolled: 1-line block ×4, first 2 shown]
	v_fma_f32 v2, v33, 2.0, -v0
	v_fma_f32 v3, v34, 2.0, -v1
	v_sub_f32_e32 v16, v4, v16
	v_sub_f32_e32 v17, v5, v17
	;; [unrolled: 1-line block ×4, first 2 shown]
	v_fma_f32 v8, v12, 2.0, -v26
	v_fma_f32 v9, v13, 2.0, -v27
	v_sub_f32_e32 v12, v14, v11
	v_sub_f32_e32 v13, v15, v19
	v_fma_f32 v4, v4, 2.0, -v16
	v_fma_f32 v5, v5, 2.0, -v17
	;; [unrolled: 1-line block ×6, first 2 shown]
	ds_write2_b64 v35, v[2:3], v[0:1] offset1:60
	ds_write2_b32 v55, v16, v17 offset0:144 offset1:145
	ds_write2_b64 v55, v[4:5], v[6:7] offset0:12 offset1:24
	ds_write2_b32 v55, v18, v25 offset0:168 offset1:169
	ds_write2_b32 v55, v26, v27 offset0:192 offset1:193
	ds_write2_b64 v55, v[8:9], v[10:11] offset0:36 offset1:48
	ds_write2_b32 v55, v12, v13 offset0:216 offset1:217
	s_waitcnt lgkmcnt(0)
	; wave barrier
	s_waitcnt lgkmcnt(0)
	s_and_saveexec_b64 s[0:1], vcc
	s_cbranch_execz .LBB0_22
; %bb.21:
	v_mul_lo_u32 v0, s3, v22
	v_mul_lo_u32 v1, s2, v23
	v_mad_u64_u32 v[4:5], s[0:1], s2, v22, 0
	v_mov_b32_e32 v7, s11
	v_lshl_add_u32 v6, v24, 3, v32
	v_add3_u32 v5, v5, v1, v0
	v_lshlrev_b64 v[4:5], 3, v[4:5]
	v_mov_b32_e32 v25, 0
	v_add_co_u32_e32 v8, vcc, s10, v4
	v_addc_co_u32_e32 v7, vcc, v7, v5, vcc
	v_lshlrev_b64 v[4:5], 3, v[20:21]
	ds_read2_b64 v[0:3], v6 offset1:12
	v_add_co_u32_e32 v8, vcc, v8, v4
	v_addc_co_u32_e32 v7, vcc, v7, v5, vcc
	v_lshlrev_b64 v[4:5], 3, v[24:25]
	v_add_co_u32_e32 v4, vcc, v8, v4
	v_addc_co_u32_e32 v5, vcc, v7, v5, vcc
	s_waitcnt lgkmcnt(0)
	global_store_dwordx2 v[4:5], v[0:1], off
	v_add_u32_e32 v0, 12, v24
	v_mov_b32_e32 v1, v25
	v_lshlrev_b64 v[0:1], 3, v[0:1]
	v_add_u32_e32 v4, 24, v24
	v_add_co_u32_e32 v0, vcc, v8, v0
	v_addc_co_u32_e32 v1, vcc, v7, v1, vcc
	global_store_dwordx2 v[0:1], v[2:3], off
	v_mov_b32_e32 v5, v25
	ds_read2_b64 v[0:3], v6 offset0:24 offset1:36
	v_lshlrev_b64 v[4:5], 3, v[4:5]
	v_add_co_u32_e32 v4, vcc, v8, v4
	v_addc_co_u32_e32 v5, vcc, v7, v5, vcc
	s_waitcnt lgkmcnt(0)
	global_store_dwordx2 v[4:5], v[0:1], off
	v_add_u32_e32 v0, 36, v24
	v_mov_b32_e32 v1, v25
	v_lshlrev_b64 v[0:1], 3, v[0:1]
	v_add_u32_e32 v4, 48, v24
	v_add_co_u32_e32 v0, vcc, v8, v0
	v_addc_co_u32_e32 v1, vcc, v7, v1, vcc
	global_store_dwordx2 v[0:1], v[2:3], off
	v_mov_b32_e32 v5, v25
	ds_read2_b64 v[0:3], v6 offset0:48 offset1:60
	v_lshlrev_b64 v[4:5], 3, v[4:5]
	v_add_co_u32_e32 v4, vcc, v8, v4
	v_addc_co_u32_e32 v5, vcc, v7, v5, vcc
	s_waitcnt lgkmcnt(0)
	global_store_dwordx2 v[4:5], v[0:1], off
	v_add_u32_e32 v0, 60, v24
	v_mov_b32_e32 v1, v25
	v_lshlrev_b64 v[0:1], 3, v[0:1]
	v_add_u32_e32 v4, 0x48, v24
	v_add_co_u32_e32 v0, vcc, v8, v0
	v_addc_co_u32_e32 v1, vcc, v7, v1, vcc
	global_store_dwordx2 v[0:1], v[2:3], off
	v_mov_b32_e32 v5, v25
	ds_read2_b64 v[0:3], v6 offset0:72 offset1:84
	v_lshlrev_b64 v[4:5], 3, v[4:5]
	v_add_co_u32_e32 v4, vcc, v8, v4
	v_addc_co_u32_e32 v5, vcc, v7, v5, vcc
	s_waitcnt lgkmcnt(0)
	global_store_dwordx2 v[4:5], v[0:1], off
	v_add_u32_e32 v0, 0x54, v24
	v_mov_b32_e32 v1, v25
	v_lshlrev_b64 v[0:1], 3, v[0:1]
	v_add_u32_e32 v4, 0x60, v24
	v_add_co_u32_e32 v0, vcc, v8, v0
	v_addc_co_u32_e32 v1, vcc, v7, v1, vcc
	global_store_dwordx2 v[0:1], v[2:3], off
	v_mov_b32_e32 v5, v25
	ds_read2_b64 v[0:3], v6 offset0:96 offset1:108
	v_lshlrev_b64 v[4:5], 3, v[4:5]
	v_add_u32_e32 v24, 0x6c, v24
	v_add_co_u32_e32 v4, vcc, v8, v4
	v_addc_co_u32_e32 v5, vcc, v7, v5, vcc
	s_waitcnt lgkmcnt(0)
	global_store_dwordx2 v[4:5], v[0:1], off
	v_lshlrev_b64 v[0:1], 3, v[24:25]
	v_add_co_u32_e32 v0, vcc, v8, v0
	v_addc_co_u32_e32 v1, vcc, v7, v1, vcc
	global_store_dwordx2 v[0:1], v[2:3], off
.LBB0_22:
	s_endpgm
	.section	.rodata,"a",@progbits
	.p2align	6, 0x0
	.amdhsa_kernel fft_rtc_back_len120_factors_6_10_2_wgs_60_tpt_12_halfLds_sp_op_CI_CI_unitstride_sbrr_C2R_dirReg
		.amdhsa_group_segment_fixed_size 0
		.amdhsa_private_segment_fixed_size 0
		.amdhsa_kernarg_size 104
		.amdhsa_user_sgpr_count 6
		.amdhsa_user_sgpr_private_segment_buffer 1
		.amdhsa_user_sgpr_dispatch_ptr 0
		.amdhsa_user_sgpr_queue_ptr 0
		.amdhsa_user_sgpr_kernarg_segment_ptr 1
		.amdhsa_user_sgpr_dispatch_id 0
		.amdhsa_user_sgpr_flat_scratch_init 0
		.amdhsa_user_sgpr_private_segment_size 0
		.amdhsa_uses_dynamic_stack 0
		.amdhsa_system_sgpr_private_segment_wavefront_offset 0
		.amdhsa_system_sgpr_workgroup_id_x 1
		.amdhsa_system_sgpr_workgroup_id_y 0
		.amdhsa_system_sgpr_workgroup_id_z 0
		.amdhsa_system_sgpr_workgroup_info 0
		.amdhsa_system_vgpr_workitem_id 0
		.amdhsa_next_free_vgpr 59
		.amdhsa_next_free_sgpr 28
		.amdhsa_reserve_vcc 1
		.amdhsa_reserve_flat_scratch 0
		.amdhsa_float_round_mode_32 0
		.amdhsa_float_round_mode_16_64 0
		.amdhsa_float_denorm_mode_32 3
		.amdhsa_float_denorm_mode_16_64 3
		.amdhsa_dx10_clamp 1
		.amdhsa_ieee_mode 1
		.amdhsa_fp16_overflow 0
		.amdhsa_exception_fp_ieee_invalid_op 0
		.amdhsa_exception_fp_denorm_src 0
		.amdhsa_exception_fp_ieee_div_zero 0
		.amdhsa_exception_fp_ieee_overflow 0
		.amdhsa_exception_fp_ieee_underflow 0
		.amdhsa_exception_fp_ieee_inexact 0
		.amdhsa_exception_int_div_zero 0
	.end_amdhsa_kernel
	.text
.Lfunc_end0:
	.size	fft_rtc_back_len120_factors_6_10_2_wgs_60_tpt_12_halfLds_sp_op_CI_CI_unitstride_sbrr_C2R_dirReg, .Lfunc_end0-fft_rtc_back_len120_factors_6_10_2_wgs_60_tpt_12_halfLds_sp_op_CI_CI_unitstride_sbrr_C2R_dirReg
                                        ; -- End function
	.section	.AMDGPU.csdata,"",@progbits
; Kernel info:
; codeLenInByte = 5368
; NumSgprs: 32
; NumVgprs: 59
; ScratchSize: 0
; MemoryBound: 0
; FloatMode: 240
; IeeeMode: 1
; LDSByteSize: 0 bytes/workgroup (compile time only)
; SGPRBlocks: 3
; VGPRBlocks: 14
; NumSGPRsForWavesPerEU: 32
; NumVGPRsForWavesPerEU: 59
; Occupancy: 4
; WaveLimiterHint : 1
; COMPUTE_PGM_RSRC2:SCRATCH_EN: 0
; COMPUTE_PGM_RSRC2:USER_SGPR: 6
; COMPUTE_PGM_RSRC2:TRAP_HANDLER: 0
; COMPUTE_PGM_RSRC2:TGID_X_EN: 1
; COMPUTE_PGM_RSRC2:TGID_Y_EN: 0
; COMPUTE_PGM_RSRC2:TGID_Z_EN: 0
; COMPUTE_PGM_RSRC2:TIDIG_COMP_CNT: 0
	.type	__hip_cuid_ef1d7b60b9611e5a,@object ; @__hip_cuid_ef1d7b60b9611e5a
	.section	.bss,"aw",@nobits
	.globl	__hip_cuid_ef1d7b60b9611e5a
__hip_cuid_ef1d7b60b9611e5a:
	.byte	0                               ; 0x0
	.size	__hip_cuid_ef1d7b60b9611e5a, 1

	.ident	"AMD clang version 19.0.0git (https://github.com/RadeonOpenCompute/llvm-project roc-6.4.0 25133 c7fe45cf4b819c5991fe208aaa96edf142730f1d)"
	.section	".note.GNU-stack","",@progbits
	.addrsig
	.addrsig_sym __hip_cuid_ef1d7b60b9611e5a
	.amdgpu_metadata
---
amdhsa.kernels:
  - .args:
      - .actual_access:  read_only
        .address_space:  global
        .offset:         0
        .size:           8
        .value_kind:     global_buffer
      - .offset:         8
        .size:           8
        .value_kind:     by_value
      - .actual_access:  read_only
        .address_space:  global
        .offset:         16
        .size:           8
        .value_kind:     global_buffer
      - .actual_access:  read_only
        .address_space:  global
        .offset:         24
        .size:           8
        .value_kind:     global_buffer
      - .actual_access:  read_only
        .address_space:  global
        .offset:         32
        .size:           8
        .value_kind:     global_buffer
      - .offset:         40
        .size:           8
        .value_kind:     by_value
      - .actual_access:  read_only
        .address_space:  global
        .offset:         48
        .size:           8
        .value_kind:     global_buffer
      - .actual_access:  read_only
        .address_space:  global
        .offset:         56
        .size:           8
        .value_kind:     global_buffer
      - .offset:         64
        .size:           4
        .value_kind:     by_value
      - .actual_access:  read_only
        .address_space:  global
        .offset:         72
        .size:           8
        .value_kind:     global_buffer
      - .actual_access:  read_only
        .address_space:  global
        .offset:         80
        .size:           8
        .value_kind:     global_buffer
      - .actual_access:  read_only
        .address_space:  global
        .offset:         88
        .size:           8
        .value_kind:     global_buffer
      - .actual_access:  write_only
        .address_space:  global
        .offset:         96
        .size:           8
        .value_kind:     global_buffer
    .group_segment_fixed_size: 0
    .kernarg_segment_align: 8
    .kernarg_segment_size: 104
    .language:       OpenCL C
    .language_version:
      - 2
      - 0
    .max_flat_workgroup_size: 60
    .name:           fft_rtc_back_len120_factors_6_10_2_wgs_60_tpt_12_halfLds_sp_op_CI_CI_unitstride_sbrr_C2R_dirReg
    .private_segment_fixed_size: 0
    .sgpr_count:     32
    .sgpr_spill_count: 0
    .symbol:         fft_rtc_back_len120_factors_6_10_2_wgs_60_tpt_12_halfLds_sp_op_CI_CI_unitstride_sbrr_C2R_dirReg.kd
    .uniform_work_group_size: 1
    .uses_dynamic_stack: false
    .vgpr_count:     59
    .vgpr_spill_count: 0
    .wavefront_size: 64
amdhsa.target:   amdgcn-amd-amdhsa--gfx906
amdhsa.version:
  - 1
  - 2
...

	.end_amdgpu_metadata
